;; amdgpu-corpus repo=ROCm/rocFFT kind=compiled arch=gfx1201 opt=O3
	.text
	.amdgcn_target "amdgcn-amd-amdhsa--gfx1201"
	.amdhsa_code_object_version 6
	.protected	fft_rtc_back_len990_factors_2_3_3_5_11_wgs_110_tpt_110_half_op_CI_CI_unitstride_sbrr_dirReg ; -- Begin function fft_rtc_back_len990_factors_2_3_3_5_11_wgs_110_tpt_110_half_op_CI_CI_unitstride_sbrr_dirReg
	.globl	fft_rtc_back_len990_factors_2_3_3_5_11_wgs_110_tpt_110_half_op_CI_CI_unitstride_sbrr_dirReg
	.p2align	8
	.type	fft_rtc_back_len990_factors_2_3_3_5_11_wgs_110_tpt_110_half_op_CI_CI_unitstride_sbrr_dirReg,@function
fft_rtc_back_len990_factors_2_3_3_5_11_wgs_110_tpt_110_half_op_CI_CI_unitstride_sbrr_dirReg: ; @fft_rtc_back_len990_factors_2_3_3_5_11_wgs_110_tpt_110_half_op_CI_CI_unitstride_sbrr_dirReg
; %bb.0:
	s_clause 0x2
	s_load_b128 s[8:11], s[0:1], 0x0
	s_load_b128 s[4:7], s[0:1], 0x58
	;; [unrolled: 1-line block ×3, first 2 shown]
	v_mul_u32_u24_e32 v1, 0x254, v0
	v_mov_b32_e32 v6, 0
	v_mov_b32_e32 v7, 0
	s_delay_alu instid0(VALU_DEP_3) | instskip(NEXT) | instid1(VALU_DEP_1)
	v_lshrrev_b32_e32 v1, 16, v1
	v_dual_mov_b32 v3, 0 :: v_dual_add_nc_u32 v8, ttmp9, v1
	s_delay_alu instid0(VALU_DEP_1) | instskip(SKIP_2) | instid1(VALU_DEP_1)
	v_mov_b32_e32 v9, v3
	s_wait_kmcnt 0x0
	v_cmp_lt_u64_e64 s2, s[10:11], 2
	s_and_b32 vcc_lo, exec_lo, s2
	s_cbranch_vccnz .LBB0_8
; %bb.1:
	s_load_b64 s[2:3], s[0:1], 0x10
	v_mov_b32_e32 v6, 0
	v_mov_b32_e32 v7, 0
	s_delay_alu instid0(VALU_DEP_2)
	v_mov_b32_e32 v1, v6
	s_add_nc_u64 s[16:17], s[14:15], 8
	s_add_nc_u64 s[18:19], s[12:13], 8
	s_mov_b64 s[20:21], 1
	v_mov_b32_e32 v2, v7
	s_wait_kmcnt 0x0
	s_add_nc_u64 s[22:23], s[2:3], 8
	s_mov_b32 s3, 0
.LBB0_2:                                ; =>This Inner Loop Header: Depth=1
	s_load_b64 s[24:25], s[22:23], 0x0
	s_wait_kmcnt 0x0
	s_delay_alu instid0(VALU_DEP_1) | instskip(NEXT) | instid1(VALU_DEP_1)
	v_or_b32_e32 v4, s25, v9
	v_cmp_ne_u64_e32 vcc_lo, 0, v[3:4]
                                        ; implicit-def: $vgpr4_vgpr5
	s_and_saveexec_b32 s2, vcc_lo
	s_wait_alu 0xfffe
	s_xor_b32 s26, exec_lo, s2
	s_cbranch_execz .LBB0_4
; %bb.3:                                ;   in Loop: Header=BB0_2 Depth=1
	s_cvt_f32_u32 s2, s24
	s_cvt_f32_u32 s27, s25
	s_sub_nc_u64 s[30:31], 0, s[24:25]
	s_wait_alu 0xfffe
	s_delay_alu instid0(SALU_CYCLE_1) | instskip(SKIP_1) | instid1(SALU_CYCLE_2)
	s_fmamk_f32 s2, s27, 0x4f800000, s2
	s_wait_alu 0xfffe
	v_s_rcp_f32 s2, s2
	s_delay_alu instid0(TRANS32_DEP_1) | instskip(SKIP_1) | instid1(SALU_CYCLE_2)
	s_mul_f32 s2, s2, 0x5f7ffffc
	s_wait_alu 0xfffe
	s_mul_f32 s27, s2, 0x2f800000
	s_wait_alu 0xfffe
	s_delay_alu instid0(SALU_CYCLE_2) | instskip(SKIP_1) | instid1(SALU_CYCLE_2)
	s_trunc_f32 s27, s27
	s_wait_alu 0xfffe
	s_fmamk_f32 s2, s27, 0xcf800000, s2
	s_cvt_u32_f32 s29, s27
	s_wait_alu 0xfffe
	s_delay_alu instid0(SALU_CYCLE_1) | instskip(SKIP_1) | instid1(SALU_CYCLE_2)
	s_cvt_u32_f32 s28, s2
	s_wait_alu 0xfffe
	s_mul_u64 s[34:35], s[30:31], s[28:29]
	s_wait_alu 0xfffe
	s_mul_hi_u32 s37, s28, s35
	s_mul_i32 s36, s28, s35
	s_mul_hi_u32 s2, s28, s34
	s_mul_i32 s33, s29, s34
	s_wait_alu 0xfffe
	s_add_nc_u64 s[36:37], s[2:3], s[36:37]
	s_mul_hi_u32 s27, s29, s34
	s_mul_hi_u32 s38, s29, s35
	s_add_co_u32 s2, s36, s33
	s_wait_alu 0xfffe
	s_add_co_ci_u32 s2, s37, s27
	s_mul_i32 s34, s29, s35
	s_add_co_ci_u32 s35, s38, 0
	s_wait_alu 0xfffe
	s_add_nc_u64 s[34:35], s[2:3], s[34:35]
	s_wait_alu 0xfffe
	v_add_co_u32 v4, s2, s28, s34
	s_delay_alu instid0(VALU_DEP_1) | instskip(SKIP_1) | instid1(VALU_DEP_1)
	s_cmp_lg_u32 s2, 0
	s_add_co_ci_u32 s29, s29, s35
	v_readfirstlane_b32 s28, v4
	s_wait_alu 0xfffe
	s_delay_alu instid0(VALU_DEP_1)
	s_mul_u64 s[30:31], s[30:31], s[28:29]
	s_wait_alu 0xfffe
	s_mul_hi_u32 s35, s28, s31
	s_mul_i32 s34, s28, s31
	s_mul_hi_u32 s2, s28, s30
	s_mul_i32 s33, s29, s30
	s_wait_alu 0xfffe
	s_add_nc_u64 s[34:35], s[2:3], s[34:35]
	s_mul_hi_u32 s27, s29, s30
	s_mul_hi_u32 s28, s29, s31
	s_wait_alu 0xfffe
	s_add_co_u32 s2, s34, s33
	s_add_co_ci_u32 s2, s35, s27
	s_mul_i32 s30, s29, s31
	s_add_co_ci_u32 s31, s28, 0
	s_wait_alu 0xfffe
	s_add_nc_u64 s[30:31], s[2:3], s[30:31]
	s_wait_alu 0xfffe
	v_add_co_u32 v10, s2, v4, s30
	s_delay_alu instid0(VALU_DEP_1) | instskip(SKIP_1) | instid1(VALU_DEP_1)
	s_cmp_lg_u32 s2, 0
	s_add_co_ci_u32 s2, s29, s31
	v_mul_hi_u32 v14, v8, v10
	s_wait_alu 0xfffe
	v_mad_co_u64_u32 v[4:5], null, v8, s2, 0
	v_mad_co_u64_u32 v[10:11], null, v9, v10, 0
	;; [unrolled: 1-line block ×3, first 2 shown]
	s_delay_alu instid0(VALU_DEP_3) | instskip(SKIP_1) | instid1(VALU_DEP_4)
	v_add_co_u32 v4, vcc_lo, v14, v4
	s_wait_alu 0xfffd
	v_add_co_ci_u32_e32 v5, vcc_lo, 0, v5, vcc_lo
	s_delay_alu instid0(VALU_DEP_2) | instskip(SKIP_1) | instid1(VALU_DEP_2)
	v_add_co_u32 v4, vcc_lo, v4, v10
	s_wait_alu 0xfffd
	v_add_co_ci_u32_e32 v4, vcc_lo, v5, v11, vcc_lo
	s_wait_alu 0xfffd
	v_add_co_ci_u32_e32 v5, vcc_lo, 0, v13, vcc_lo
	s_delay_alu instid0(VALU_DEP_2) | instskip(SKIP_1) | instid1(VALU_DEP_2)
	v_add_co_u32 v10, vcc_lo, v4, v12
	s_wait_alu 0xfffd
	v_add_co_ci_u32_e32 v11, vcc_lo, 0, v5, vcc_lo
	s_delay_alu instid0(VALU_DEP_2) | instskip(SKIP_1) | instid1(VALU_DEP_3)
	v_mul_lo_u32 v12, s25, v10
	v_mad_co_u64_u32 v[4:5], null, s24, v10, 0
	v_mul_lo_u32 v13, s24, v11
	s_delay_alu instid0(VALU_DEP_2) | instskip(NEXT) | instid1(VALU_DEP_2)
	v_sub_co_u32 v4, vcc_lo, v8, v4
	v_add3_u32 v5, v5, v13, v12
	s_delay_alu instid0(VALU_DEP_1) | instskip(SKIP_1) | instid1(VALU_DEP_1)
	v_sub_nc_u32_e32 v12, v9, v5
	s_wait_alu 0xfffd
	v_subrev_co_ci_u32_e64 v12, s2, s25, v12, vcc_lo
	v_add_co_u32 v13, s2, v10, 2
	s_wait_alu 0xf1ff
	v_add_co_ci_u32_e64 v14, s2, 0, v11, s2
	v_sub_co_u32 v15, s2, v4, s24
	v_sub_co_ci_u32_e32 v5, vcc_lo, v9, v5, vcc_lo
	s_wait_alu 0xf1ff
	v_subrev_co_ci_u32_e64 v12, s2, 0, v12, s2
	s_delay_alu instid0(VALU_DEP_3) | instskip(NEXT) | instid1(VALU_DEP_3)
	v_cmp_le_u32_e32 vcc_lo, s24, v15
	v_cmp_eq_u32_e64 s2, s25, v5
	s_wait_alu 0xfffd
	v_cndmask_b32_e64 v15, 0, -1, vcc_lo
	v_cmp_le_u32_e32 vcc_lo, s25, v12
	s_wait_alu 0xfffd
	v_cndmask_b32_e64 v16, 0, -1, vcc_lo
	v_cmp_le_u32_e32 vcc_lo, s24, v4
	;; [unrolled: 3-line block ×3, first 2 shown]
	s_wait_alu 0xfffd
	v_cndmask_b32_e64 v17, 0, -1, vcc_lo
	v_cmp_eq_u32_e32 vcc_lo, s25, v12
	s_wait_alu 0xf1ff
	s_delay_alu instid0(VALU_DEP_2)
	v_cndmask_b32_e64 v4, v17, v4, s2
	s_wait_alu 0xfffd
	v_cndmask_b32_e32 v12, v16, v15, vcc_lo
	v_add_co_u32 v15, vcc_lo, v10, 1
	s_wait_alu 0xfffd
	v_add_co_ci_u32_e32 v16, vcc_lo, 0, v11, vcc_lo
	s_delay_alu instid0(VALU_DEP_3) | instskip(SKIP_1) | instid1(VALU_DEP_2)
	v_cmp_ne_u32_e32 vcc_lo, 0, v12
	s_wait_alu 0xfffd
	v_dual_cndmask_b32 v5, v16, v14 :: v_dual_cndmask_b32 v12, v15, v13
	v_cmp_ne_u32_e32 vcc_lo, 0, v4
	s_wait_alu 0xfffd
	s_delay_alu instid0(VALU_DEP_2)
	v_dual_cndmask_b32 v5, v11, v5 :: v_dual_cndmask_b32 v4, v10, v12
.LBB0_4:                                ;   in Loop: Header=BB0_2 Depth=1
	s_wait_alu 0xfffe
	s_and_not1_saveexec_b32 s2, s26
	s_cbranch_execz .LBB0_6
; %bb.5:                                ;   in Loop: Header=BB0_2 Depth=1
	v_cvt_f32_u32_e32 v4, s24
	s_sub_co_i32 s26, 0, s24
	s_delay_alu instid0(VALU_DEP_1) | instskip(NEXT) | instid1(TRANS32_DEP_1)
	v_rcp_iflag_f32_e32 v4, v4
	v_mul_f32_e32 v4, 0x4f7ffffe, v4
	s_delay_alu instid0(VALU_DEP_1) | instskip(SKIP_1) | instid1(VALU_DEP_1)
	v_cvt_u32_f32_e32 v4, v4
	s_wait_alu 0xfffe
	v_mul_lo_u32 v5, s26, v4
	s_delay_alu instid0(VALU_DEP_1) | instskip(NEXT) | instid1(VALU_DEP_1)
	v_mul_hi_u32 v5, v4, v5
	v_add_nc_u32_e32 v4, v4, v5
	s_delay_alu instid0(VALU_DEP_1) | instskip(NEXT) | instid1(VALU_DEP_1)
	v_mul_hi_u32 v4, v8, v4
	v_mul_lo_u32 v5, v4, s24
	v_add_nc_u32_e32 v10, 1, v4
	s_delay_alu instid0(VALU_DEP_2) | instskip(NEXT) | instid1(VALU_DEP_1)
	v_sub_nc_u32_e32 v5, v8, v5
	v_subrev_nc_u32_e32 v11, s24, v5
	v_cmp_le_u32_e32 vcc_lo, s24, v5
	s_wait_alu 0xfffd
	s_delay_alu instid0(VALU_DEP_2) | instskip(NEXT) | instid1(VALU_DEP_1)
	v_dual_cndmask_b32 v5, v5, v11 :: v_dual_cndmask_b32 v4, v4, v10
	v_cmp_le_u32_e32 vcc_lo, s24, v5
	s_delay_alu instid0(VALU_DEP_2) | instskip(SKIP_1) | instid1(VALU_DEP_1)
	v_dual_mov_b32 v5, v3 :: v_dual_add_nc_u32 v10, 1, v4
	s_wait_alu 0xfffd
	v_cndmask_b32_e32 v4, v4, v10, vcc_lo
.LBB0_6:                                ;   in Loop: Header=BB0_2 Depth=1
	s_wait_alu 0xfffe
	s_or_b32 exec_lo, exec_lo, s2
	v_mul_lo_u32 v12, v5, s24
	s_delay_alu instid0(VALU_DEP_2)
	v_mul_lo_u32 v13, v4, s25
	s_load_b64 s[26:27], s[18:19], 0x0
	v_mad_co_u64_u32 v[10:11], null, v4, s24, 0
	s_load_b64 s[24:25], s[16:17], 0x0
	s_add_nc_u64 s[20:21], s[20:21], 1
	s_add_nc_u64 s[16:17], s[16:17], 8
	s_wait_alu 0xfffe
	v_cmp_ge_u64_e64 s2, s[20:21], s[10:11]
	s_add_nc_u64 s[18:19], s[18:19], 8
	s_add_nc_u64 s[22:23], s[22:23], 8
	v_add3_u32 v11, v11, v13, v12
	v_sub_co_u32 v8, vcc_lo, v8, v10
	s_wait_alu 0xfffd
	s_delay_alu instid0(VALU_DEP_2) | instskip(SKIP_2) | instid1(VALU_DEP_1)
	v_sub_co_ci_u32_e32 v9, vcc_lo, v9, v11, vcc_lo
	s_and_b32 vcc_lo, exec_lo, s2
	s_wait_kmcnt 0x0
	v_mul_lo_u32 v10, s26, v9
	v_mul_lo_u32 v11, s27, v8
	v_mad_co_u64_u32 v[6:7], null, s26, v8, v[6:7]
	v_mul_lo_u32 v9, s24, v9
	v_mul_lo_u32 v12, s25, v8
	v_mad_co_u64_u32 v[1:2], null, s24, v8, v[1:2]
	s_delay_alu instid0(VALU_DEP_4) | instskip(NEXT) | instid1(VALU_DEP_2)
	v_add3_u32 v7, v11, v7, v10
	v_add3_u32 v2, v12, v2, v9
	s_wait_alu 0xfffe
	s_cbranch_vccnz .LBB0_9
; %bb.7:                                ;   in Loop: Header=BB0_2 Depth=1
	v_dual_mov_b32 v9, v5 :: v_dual_mov_b32 v8, v4
	s_branch .LBB0_2
.LBB0_8:
	v_dual_mov_b32 v1, v6 :: v_dual_mov_b32 v2, v7
	v_dual_mov_b32 v4, v8 :: v_dual_mov_b32 v5, v9
.LBB0_9:
	s_load_b64 s[0:1], s[0:1], 0x28
	v_mul_hi_u32 v16, 0x253c826, v0
	s_lshl_b64 s[10:11], s[10:11], 3
                                        ; implicit-def: $vgpr3
	s_wait_alu 0xfffe
	s_add_nc_u64 s[2:3], s[14:15], s[10:11]
                                        ; implicit-def: $sgpr14
	s_wait_kmcnt 0x0
	v_cmp_gt_u64_e32 vcc_lo, s[0:1], v[4:5]
	v_cmp_le_u64_e64 s0, s[0:1], v[4:5]
	s_delay_alu instid0(VALU_DEP_1)
	s_and_saveexec_b32 s1, s0
	s_wait_alu 0xfffe
	s_xor_b32 s0, exec_lo, s1
; %bb.10:
	v_mul_u32_u24_e32 v3, 0x6e, v16
	s_mov_b32 s14, 0
                                        ; implicit-def: $vgpr16
                                        ; implicit-def: $vgpr6_vgpr7
	s_delay_alu instid0(VALU_DEP_1)
	v_sub_nc_u32_e32 v3, v0, v3
                                        ; implicit-def: $vgpr0
; %bb.11:
	s_wait_alu 0xfffe
	s_or_saveexec_b32 s1, s0
	s_load_b64 s[2:3], s[2:3], 0x0
	v_mov_b32_e32 v8, s14
                                        ; implicit-def: $vgpr18
                                        ; implicit-def: $vgpr12
                                        ; implicit-def: $vgpr17
                                        ; implicit-def: $vgpr9
                                        ; implicit-def: $vgpr15
                                        ; implicit-def: $vgpr10
                                        ; implicit-def: $vgpr14
                                        ; implicit-def: $vgpr11
                                        ; implicit-def: $vgpr13
	s_xor_b32 exec_lo, exec_lo, s1
	s_cbranch_execz .LBB0_15
; %bb.12:
	s_add_nc_u64 s[10:11], s[12:13], s[10:11]
	v_lshlrev_b64_e32 v[6:7], 2, v[6:7]
	s_load_b64 s[10:11], s[10:11], 0x0
                                        ; implicit-def: $vgpr18
	s_wait_kmcnt 0x0
	v_mul_lo_u32 v3, s11, v4
	v_mul_lo_u32 v10, s10, v5
	v_mad_co_u64_u32 v[8:9], null, s10, v4, 0
	s_delay_alu instid0(VALU_DEP_1) | instskip(SKIP_1) | instid1(VALU_DEP_2)
	v_add3_u32 v9, v9, v10, v3
	v_mul_u32_u24_e32 v3, 0x6e, v16
	v_lshlrev_b64_e32 v[8:9], 2, v[8:9]
	s_delay_alu instid0(VALU_DEP_2) | instskip(NEXT) | instid1(VALU_DEP_2)
	v_sub_nc_u32_e32 v3, v0, v3
	v_add_co_u32 v0, s0, s4, v8
	s_wait_alu 0xf1ff
	s_delay_alu instid0(VALU_DEP_3) | instskip(NEXT) | instid1(VALU_DEP_3)
	v_add_co_ci_u32_e64 v8, s0, s5, v9, s0
	v_lshlrev_b32_e32 v9, 2, v3
	s_delay_alu instid0(VALU_DEP_3) | instskip(SKIP_1) | instid1(VALU_DEP_3)
	v_add_co_u32 v0, s0, v0, v6
	s_wait_alu 0xf1ff
	v_add_co_ci_u32_e64 v7, s0, v8, v7, s0
	v_mov_b32_e32 v8, 0
	s_delay_alu instid0(VALU_DEP_3) | instskip(SKIP_1) | instid1(VALU_DEP_3)
	v_add_co_u32 v6, s0, v0, v9
	s_wait_alu 0xf1ff
	v_add_co_ci_u32_e64 v7, s0, 0, v7, s0
	s_mov_b32 s4, exec_lo
	s_clause 0x7
	global_load_b32 v12, v[6:7], off
	global_load_b32 v9, v[6:7], off offset:440
	global_load_b32 v10, v[6:7], off offset:880
	;; [unrolled: 1-line block ×7, first 2 shown]
	v_cmpx_gt_u32_e32 55, v3
; %bb.13:
	s_clause 0x1
	global_load_b32 v8, v[6:7], off offset:1760
	global_load_b32 v18, v[6:7], off offset:3740
; %bb.14:
	s_wait_alu 0xfffe
	s_or_b32 exec_lo, exec_lo, s4
.LBB0_15:
	s_delay_alu instid0(SALU_CYCLE_1)
	s_or_b32 exec_lo, exec_lo, s1
	s_wait_loadcnt 0x1
	v_pk_add_f16 v17, v12, v17 neg_lo:[0,1] neg_hi:[0,1]
	v_lshrrev_b32_e32 v7, 16, v12
	s_wait_loadcnt 0x0
	v_pk_add_f16 v0, v8, v18 neg_lo:[0,1] neg_hi:[0,1]
	v_add_nc_u32_e32 v16, 0x6e, v3
	v_pk_add_f16 v15, v9, v15 neg_lo:[0,1] neg_hi:[0,1]
	v_lshrrev_b32_e32 v19, 16, v17
	v_fma_f16 v12, v12, 2.0, -v17
	v_pk_add_f16 v14, v10, v14 neg_lo:[0,1] neg_hi:[0,1]
	v_lshl_add_u32 v6, v3, 3, 0
	v_pk_add_f16 v13, v11, v13 neg_lo:[0,1] neg_hi:[0,1]
	v_fma_f16 v18, v7, 2.0, -v19
	v_and_b32_e32 v12, 0xffff, v12
	v_add_nc_u32_e32 v7, 0xdc, v3
	v_lshl_add_u32 v19, v16, 3, 0
	v_pk_fma_f16 v9, v9, 2.0, v15 op_sel_hi:[1,0,1] neg_lo:[0,0,1] neg_hi:[0,0,1]
	v_lshlrev_b32_e32 v18, 16, v18
	v_pk_fma_f16 v10, v10, 2.0, v14 op_sel_hi:[1,0,1] neg_lo:[0,0,1] neg_hi:[0,0,1]
	v_lshl_add_u32 v20, v7, 3, 0
	v_pk_fma_f16 v11, v11, 2.0, v13 op_sel_hi:[1,0,1] neg_lo:[0,0,1] neg_hi:[0,0,1]
	s_mov_b32 s1, exec_lo
	v_or_b32_e32 v12, v18, v12
	v_add_nc_u32_e32 v18, 0xa50, v6
	ds_store_2addr_b32 v6, v12, v17 offset1:1
	ds_store_2addr_b32 v19, v9, v15 offset1:1
	;; [unrolled: 1-line block ×4, first 2 shown]
	v_cmpx_gt_u32_e32 55, v3
	s_cbranch_execz .LBB0_17
; %bb.16:
	v_add_nc_u32_e32 v9, 0xdc0, v6
	v_pk_fma_f16 v8, v8, 2.0, v0 op_sel_hi:[1,0,1] neg_lo:[0,0,1] neg_hi:[0,0,1]
	ds_store_2addr_b32 v9, v8, v0 offset1:1
.LBB0_17:
	s_wait_alu 0xfffe
	s_or_b32 exec_lo, exec_lo, s1
	v_and_b32_e32 v12, 1, v3
	global_wb scope:SCOPE_SE
	s_wait_dscnt 0x0
	s_wait_kmcnt 0x0
	s_barrier_signal -1
	s_barrier_wait -1
	global_inv scope:SCOPE_SE
	v_lshlrev_b32_e32 v8, 3, v12
	v_lshlrev_b32_e32 v13, 2, v3
	v_lshrrev_b32_e32 v10, 1, v3
	v_lshrrev_b32_e32 v11, 1, v16
	;; [unrolled: 1-line block ×3, first 2 shown]
	global_load_b64 v[8:9], v8, s[8:9]
	v_and_b32_e32 v20, 0xff, v3
	v_and_b32_e32 v19, 0xff, v16
	;; [unrolled: 1-line block ×3, first 2 shown]
	v_sub_nc_u32_e32 v28, v6, v13
	v_mul_u32_u24_e32 v17, 6, v10
	v_mul_u32_u24_e32 v18, 6, v11
	;; [unrolled: 1-line block ×3, first 2 shown]
	v_mul_lo_u16 v21, 0xab, v20
	v_mul_lo_u16 v22, 0xab, v19
	v_mul_u32_u24_e32 v15, 0xaaab, v15
	v_add_nc_u32_e32 v24, 0x200, v28
	v_add_nc_u32_e32 v25, 0xa00, v28
	;; [unrolled: 1-line block ×3, first 2 shown]
	ds_load_2addr_b32 v[10:11], v28 offset1:110
	ds_load_b32 v23, v28 offset:3520
	v_or_b32_e32 v26, v17, v12
	v_or_b32_e32 v27, v18, v12
	;; [unrolled: 1-line block ×3, first 2 shown]
	v_lshrrev_b16 v30, 10, v21
	v_lshrrev_b16 v31, 10, v22
	v_lshrrev_b32_e32 v32, 18, v15
	ds_load_2addr_b32 v[14:15], v24 offset0:92 offset1:202
	ds_load_2addr_b32 v[17:18], v25 offset0:20 offset1:130
	;; [unrolled: 1-line block ×3, first 2 shown]
	v_lshl_add_u32 v26, v26, 2, 0
	v_mul_lo_u16 v33, v30, 6
	v_mul_lo_u16 v34, v31, 6
	v_mul_lo_u16 v35, v32, 6
	v_lshl_add_u32 v27, v27, 2, 0
	v_lshl_add_u32 v12, v12, 2, 0
	v_sub_nc_u16 v33, v3, v33
	v_sub_nc_u16 v34, v16, v34
	;; [unrolled: 1-line block ×3, first 2 shown]
	global_wb scope:SCOPE_SE
	s_wait_loadcnt_dscnt 0x0
	s_barrier_signal -1
	v_lshrrev_b32_e32 v36, 16, v11
	v_lshrrev_b32_e32 v37, 16, v23
	v_and_b32_e32 v35, 0xffff, v7
	v_lshrrev_b32_e32 v7, 16, v10
	v_and_b32_e32 v33, 0xff, v33
	v_and_b32_e32 v34, 0xff, v34
	v_lshrrev_b32_e32 v42, 16, v15
	v_lshrrev_b32_e32 v43, 16, v17
	v_lshrrev_b32_e32 v45, 16, v21
	v_lshrrev_b32_e32 v47, 16, v18
	v_lshrrev_b32_e32 v48, 16, v22
	v_lshrrev_b32_e32 v41, 16, v14
	v_lshlrev_b32_e32 v38, 3, v33
	v_lshlrev_b32_e32 v39, 3, v34
	;; [unrolled: 1-line block ×3, first 2 shown]
	s_barrier_wait -1
	global_inv scope:SCOPE_SE
	v_sub_nc_u32_e32 v13, 0, v13
	v_cmp_gt_u32_e64 s0, 0x58, v3
	v_lshrrev_b32_e32 v44, 16, v8
	v_lshrrev_b32_e32 v46, 16, v9
	s_delay_alu instid0(VALU_DEP_2) | instskip(SKIP_1) | instid1(VALU_DEP_3)
	v_mul_f16_e32 v49, v44, v42
	v_mul_f16_e32 v50, v44, v15
	;; [unrolled: 1-line block ×12, first 2 shown]
	v_fmac_f16_e32 v49, v8, v15
	v_fma_f16 v15, v8, v42, -v50
	v_fmac_f16_e32 v51, v9, v17
	v_fma_f16 v17, v9, v43, -v52
	;; [unrolled: 2-line block ×6, first 2 shown]
	v_add_f16_e32 v23, v49, v51
	v_sub_f16_e32 v37, v15, v17
	v_add_f16_e32 v42, v7, v15
	v_add_f16_e32 v15, v15, v17
	;; [unrolled: 1-line block ×3, first 2 shown]
	v_sub_f16_e32 v46, v21, v18
	v_add_f16_e32 v47, v36, v21
	v_add_f16_e32 v21, v21, v18
	;; [unrolled: 1-line block ×3, first 2 shown]
	v_sub_f16_e32 v48, v53, v55
	v_add_f16_e32 v50, v57, v58
	v_sub_f16_e32 v52, v8, v9
	v_add_f16_e32 v53, v41, v8
	v_add_f16_e32 v8, v8, v9
	;; [unrolled: 1-line block ×3, first 2 shown]
	v_sub_f16_e32 v43, v49, v51
	v_fma_f16 v10, -0.5, v23, v10
	v_fmac_f16_e32 v7, -0.5, v15
	v_fmac_f16_e32 v11, -0.5, v45
	;; [unrolled: 1-line block ×3, first 2 shown]
	v_add_f16_e32 v49, v14, v57
	v_sub_f16_e32 v54, v57, v58
	v_fmac_f16_e32 v14, -0.5, v50
	v_fmac_f16_e32 v41, -0.5, v8
	v_add_f16_e32 v22, v22, v51
	v_add_f16_e32 v17, v42, v17
	v_fmamk_f16 v8, v37, 0xbaee, v10
	v_fmamk_f16 v23, v43, 0x3aee, v7
	v_fmac_f16_e32 v10, 0x3aee, v37
	v_fmac_f16_e32 v7, 0xbaee, v43
	v_add_f16_e32 v15, v44, v55
	v_add_f16_e32 v18, v47, v18
	v_fmamk_f16 v37, v46, 0xbaee, v11
	v_fmamk_f16 v42, v48, 0x3aee, v36
	v_fmac_f16_e32 v11, 0x3aee, v46
	v_fmac_f16_e32 v36, 0xbaee, v48
	v_add_f16_e32 v21, v49, v58
	v_add_f16_e32 v9, v53, v9
	v_fmamk_f16 v43, v52, 0xbaee, v14
	v_fmac_f16_e32 v14, 0x3aee, v52
	v_fmamk_f16 v44, v54, 0x3aee, v41
	v_fmac_f16_e32 v41, 0xbaee, v54
	v_pack_b32_f16 v17, v22, v17
	v_pack_b32_f16 v8, v8, v23
	;; [unrolled: 1-line block ×9, first 2 shown]
	ds_store_2addr_b32 v26, v17, v8 offset1:2
	ds_store_b32 v26, v7 offset:16
	ds_store_2addr_b32 v27, v15, v10 offset1:2
	ds_store_b32 v27, v11 offset:16
	;; [unrolled: 2-line block ×3, first 2 shown]
	global_wb scope:SCOPE_SE
	s_wait_dscnt 0x0
	s_barrier_signal -1
	s_barrier_wait -1
	global_inv scope:SCOPE_SE
	s_clause 0x2
	global_load_b64 v[9:10], v38, s[8:9] offset:16
	global_load_b64 v[14:15], v39, s[8:9] offset:16
	;; [unrolled: 1-line block ×3, first 2 shown]
	v_and_b32_e32 v17, 0xffff, v30
	ds_load_2addr_b32 v[7:8], v28 offset1:110
	ds_load_2addr_b32 v[11:12], v24 offset0:92 offset1:202
	ds_load_b32 v30, v28 offset:3520
	ds_load_2addr_b32 v[24:25], v25 offset0:20 offset1:130
	ds_load_2addr_b32 v[26:27], v29 offset0:56 offset1:166
	v_and_b32_e32 v18, 0xffff, v31
	v_lshlrev_b32_e32 v31, 2, v33
	v_lshlrev_b32_e32 v33, 2, v35
	v_mul_u32_u24_e32 v21, 0x48, v32
	v_lshlrev_b32_e32 v32, 2, v34
	v_mul_u32_u24_e32 v17, 0x48, v17
	v_mul_u32_u24_e32 v18, 0x48, v18
	global_wb scope:SCOPE_SE
	s_wait_loadcnt_dscnt 0x0
	s_barrier_signal -1
	s_barrier_wait -1
	v_add3_u32 v17, 0, v17, v31
	v_add3_u32 v31, 0, v18, v32
	;; [unrolled: 1-line block ×3, first 2 shown]
	global_inv scope:SCOPE_SE
	v_lshrrev_b32_e32 v35, 16, v12
	v_lshrrev_b32_e32 v36, 16, v24
	;; [unrolled: 1-line block ×15, first 2 shown]
	v_mul_f16_e32 v46, v40, v35
	v_mul_f16_e32 v40, v40, v12
	;; [unrolled: 1-line block ×12, first 2 shown]
	v_fmac_f16_e32 v46, v9, v12
	v_fma_f16 v9, v9, v35, -v40
	v_fmac_f16_e32 v47, v10, v24
	v_fma_f16 v10, v10, v36, -v41
	;; [unrolled: 2-line block ×6, first 2 shown]
	v_add_f16_e32 v24, v46, v47
	v_sub_f16_e32 v25, v9, v10
	v_add_f16_e32 v26, v33, v9
	v_add_f16_e32 v9, v9, v10
	v_add_f16_e32 v34, v48, v49
	v_sub_f16_e32 v35, v12, v14
	v_add_f16_e32 v36, v18, v12
	v_add_f16_e32 v12, v12, v14
	;; [unrolled: 4-line block ×3, first 2 shown]
	v_add_f16_e32 v23, v7, v46
	v_sub_f16_e32 v27, v46, v47
	v_fma_f16 v24, -0.5, v24, v7
	v_fmac_f16_e32 v33, -0.5, v9
	v_add_f16_e32 v30, v8, v48
	v_sub_f16_e32 v37, v48, v49
	v_fmac_f16_e32 v8, -0.5, v34
	v_fmac_f16_e32 v18, -0.5, v12
	v_add_f16_e32 v38, v11, v50
	v_sub_f16_e32 v42, v50, v51
	v_fmac_f16_e32 v11, -0.5, v39
	v_fmac_f16_e32 v21, -0.5, v15
	v_add_f16_e32 v43, v23, v47
	v_add_f16_e32 v10, v26, v10
	v_fmamk_f16 v15, v25, 0xbaee, v24
	v_fmac_f16_e32 v24, 0x3aee, v25
	v_fmamk_f16 v25, v27, 0x3aee, v33
	v_fmac_f16_e32 v33, 0xbaee, v27
	v_add_f16_e32 v9, v30, v49
	v_add_f16_e32 v14, v36, v14
	v_fmamk_f16 v26, v35, 0xbaee, v8
	v_fmamk_f16 v27, v37, 0x3aee, v18
	v_fmac_f16_e32 v8, 0x3aee, v35
	v_fmac_f16_e32 v18, 0xbaee, v37
	v_add_f16_e32 v7, v38, v51
	v_add_f16_e32 v22, v41, v22
	v_fmamk_f16 v12, v40, 0xbaee, v11
	v_fmamk_f16 v23, v42, 0x3aee, v21
	v_fmac_f16_e32 v11, 0x3aee, v40
	v_fmac_f16_e32 v21, 0xbaee, v42
	v_pack_b32_f16 v10, v43, v10
	v_pack_b32_f16 v15, v15, v25
	;; [unrolled: 1-line block ×9, first 2 shown]
	ds_store_2addr_b32 v17, v10, v15 offset1:6
	ds_store_b32 v17, v24 offset:48
	ds_store_2addr_b32 v31, v9, v25 offset1:6
	ds_store_b32 v31, v26 offset:48
	;; [unrolled: 2-line block ×3, first 2 shown]
	global_wb scope:SCOPE_SE
	s_wait_dscnt 0x0
	s_barrier_signal -1
	s_barrier_wait -1
	global_inv scope:SCOPE_SE
	ds_load_2addr_b32 v[9:10], v28 offset1:198
	ds_load_2addr_b32 v[14:15], v29 offset0:12 offset1:210
	ds_load_b32 v24, v28 offset:3168
	v_add_nc_u32_e32 v17, v6, v13
	s_and_saveexec_b32 s1, s0
	s_cbranch_execz .LBB0_19
; %bb.18:
	s_delay_alu instid0(VALU_DEP_1)
	v_add_nc_u32_e32 v0, 0x100, v17
	v_add_nc_u32_e32 v8, 0x780, v17
	ds_load_2addr_b32 v[6:7], v0 offset0:46 offset1:244
	ds_load_2addr_b32 v[12:13], v8 offset0:26 offset1:224
	ds_load_b32 v0, v17 offset:3608
	s_wait_dscnt 0x2
	v_lshrrev_b32_e32 v18, 16, v6
	s_wait_dscnt 0x1
	v_mov_b32_e32 v11, v13
	v_lshrrev_b32_e32 v22, 16, v7
	v_lshrrev_b32_e32 v23, 16, v12
	;; [unrolled: 1-line block ×3, first 2 shown]
	v_mov_b32_e32 v8, v6
.LBB0_19:
	s_wait_alu 0xfffe
	s_or_b32 exec_lo, exec_lo, s1
	v_mul_lo_u16 v6, v20, 57
	v_mul_lo_u16 v13, v19, 57
	s_wait_dscnt 0x1
	v_lshrrev_b32_e32 v25, 16, v15
	s_wait_dscnt 0x0
	v_lshrrev_b32_e32 v26, 16, v24
	v_lshrrev_b32_e32 v27, 16, v0
	v_lshrrev_b16 v6, 10, v6
	v_lshrrev_b16 v28, 10, v13
	v_lshrrev_b32_e32 v20, 16, v9
	s_delay_alu instid0(VALU_DEP_3) | instskip(NEXT) | instid1(VALU_DEP_3)
	v_mul_lo_u16 v13, v6, 18
	v_mul_lo_u16 v19, v28, 18
	v_and_b32_e32 v6, 0xffff, v6
	s_delay_alu instid0(VALU_DEP_3) | instskip(NEXT) | instid1(VALU_DEP_3)
	v_sub_nc_u16 v13, v3, v13
	v_sub_nc_u16 v16, v16, v19
	s_delay_alu instid0(VALU_DEP_3) | instskip(NEXT) | instid1(VALU_DEP_3)
	v_mul_u32_u24_e32 v6, 0x168, v6
	v_and_b32_e32 v13, 0xff, v13
	s_delay_alu instid0(VALU_DEP_3) | instskip(NEXT) | instid1(VALU_DEP_2)
	v_and_b32_e32 v29, 0xff, v16
	v_lshlrev_b32_e32 v16, 4, v13
	s_delay_alu instid0(VALU_DEP_2)
	v_lshlrev_b32_e32 v19, 4, v29
	v_lshlrev_b32_e32 v13, 2, v13
	s_clause 0x1
	global_load_b128 v[30:33], v16, s[8:9] offset:64
	global_load_b128 v[34:37], v19, s[8:9] offset:64
	v_lshrrev_b32_e32 v16, 16, v10
	v_lshrrev_b32_e32 v19, 16, v14
	v_add3_u32 v38, 0, v6, v13
	global_wb scope:SCOPE_SE
	s_wait_loadcnt 0x0
	s_barrier_signal -1
	s_barrier_wait -1
	global_inv scope:SCOPE_SE
	v_lshrrev_b32_e32 v6, 16, v30
	v_lshrrev_b32_e32 v13, 16, v31
	;; [unrolled: 1-line block ×8, first 2 shown]
	v_mul_f16_e32 v45, v6, v16
	v_mul_f16_e32 v46, v13, v19
	;; [unrolled: 1-line block ×16, first 2 shown]
	v_fmac_f16_e32 v45, v30, v10
	v_fmac_f16_e32 v46, v31, v14
	v_fma_f16 v13, v31, v19, -v13
	v_fmac_f16_e32 v47, v32, v15
	v_fma_f16 v14, v32, v25, -v39
	;; [unrolled: 2-line block ×3, first 2 shown]
	v_fma_f16 v19, v33, v26, -v40
	v_fmac_f16_e32 v49, v7, v34
	v_fma_f16 v7, v22, v34, -v41
	v_fmac_f16_e32 v50, v12, v35
	;; [unrolled: 2-line block ×4, first 2 shown]
	v_fma_f16 v0, v27, v37, -v44
	v_add_f16_e32 v10, v9, v45
	v_add_f16_e32 v15, v46, v47
	v_sub_f16_e32 v16, v45, v46
	v_sub_f16_e32 v21, v48, v47
	v_add_f16_e32 v26, v13, v14
	v_add_f16_e32 v22, v45, v48
	;; [unrolled: 1-line block ×3, first 2 shown]
	v_sub_f16_e32 v27, v6, v19
	v_sub_f16_e32 v23, v46, v45
	;; [unrolled: 1-line block ×3, first 2 shown]
	v_add_f16_e32 v25, v20, v6
	v_sub_f16_e32 v31, v45, v48
	v_sub_f16_e32 v32, v46, v47
	v_add_f16_e32 v39, v50, v51
	v_sub_f16_e32 v40, v7, v0
	v_add_f16_e32 v44, v49, v52
	v_add_f16_e32 v54, v18, v7
	;; [unrolled: 1-line block ×3, first 2 shown]
	v_sub_f16_e32 v57, v7, v12
	v_add_f16_e32 v59, v7, v0
	v_sub_f16_e32 v7, v12, v7
	v_sub_f16_e32 v60, v11, v0
	v_add_f16_e32 v46, v10, v46
	v_fma_f16 v10, -0.5, v15, v9
	v_add_f16_e32 v61, v16, v21
	v_fma_f16 v21, -0.5, v26, v20
	v_sub_f16_e32 v30, v13, v14
	v_fmac_f16_e32 v9, -0.5, v22
	v_fmac_f16_e32 v20, -0.5, v35
	v_sub_f16_e32 v33, v6, v13
	v_sub_f16_e32 v34, v19, v14
	;; [unrolled: 1-line block ×4, first 2 shown]
	v_add_f16_e32 v37, v8, v49
	v_sub_f16_e32 v41, v12, v11
	v_sub_f16_e32 v42, v49, v50
	;; [unrolled: 1-line block ×6, first 2 shown]
	v_add_f16_e32 v62, v23, v24
	v_add_f16_e32 v15, v25, v13
	v_fma_f16 v13, -0.5, v39, v8
	v_fmac_f16_e32 v8, -0.5, v44
	v_fma_f16 v22, -0.5, v55, v18
	v_fmac_f16_e32 v18, -0.5, v59
	v_add_f16_e32 v39, v7, v60
	v_fmamk_f16 v7, v27, 0xbb9c, v10
	v_fmamk_f16 v23, v31, 0x3b9c, v21
	;; [unrolled: 1-line block ×3, first 2 shown]
	v_fmac_f16_e32 v9, 0xbb9c, v30
	v_fmamk_f16 v24, v32, 0xbb9c, v20
	v_fmac_f16_e32 v20, 0x3b9c, v32
	v_fmac_f16_e32 v10, 0x3b9c, v27
	;; [unrolled: 1-line block ×3, first 2 shown]
	v_sub_f16_e32 v53, v51, v52
	v_sub_f16_e32 v58, v0, v11
	v_add_f16_e32 v33, v33, v34
	v_add_f16_e32 v34, v6, v36
	v_add_f16_e32 v6, v37, v50
	v_add_f16_e32 v35, v42, v43
	v_add_f16_e32 v12, v54, v12
	v_add_f16_e32 v42, v46, v47
	v_add_f16_e32 v43, v15, v14
	v_fmamk_f16 v14, v40, 0xbb9c, v13
	v_fmac_f16_e32 v13, 0x3b9c, v40
	v_fmamk_f16 v15, v41, 0x3b9c, v8
	v_fmac_f16_e32 v8, 0xbb9c, v41
	;; [unrolled: 2-line block ×4, first 2 shown]
	v_fmac_f16_e32 v7, 0xb8b4, v30
	v_fmac_f16_e32 v23, 0x38b4, v32
	v_fmac_f16_e32 v16, 0xb8b4, v27
	v_fmac_f16_e32 v9, 0x38b4, v27
	v_fmac_f16_e32 v24, 0x38b4, v31
	v_fmac_f16_e32 v20, 0xb8b4, v31
	v_fmac_f16_e32 v10, 0x38b4, v30
	v_fmac_f16_e32 v21, 0xb8b4, v32
	v_add_f16_e32 v36, v45, v53
	v_add_f16_e32 v37, v57, v58
	;; [unrolled: 1-line block ×6, first 2 shown]
	v_fmac_f16_e32 v14, 0xb8b4, v41
	v_fmac_f16_e32 v13, 0x38b4, v41
	;; [unrolled: 1-line block ×16, first 2 shown]
	v_add_f16_e32 v11, v44, v52
	v_add_f16_e32 v27, v12, v0
	v_fmac_f16_e32 v14, 0x34f2, v35
	v_fmac_f16_e32 v13, 0x34f2, v35
	;; [unrolled: 1-line block ×7, first 2 shown]
	v_pack_b32_f16 v0, v6, v19
	v_pack_b32_f16 v12, v7, v23
	v_fmac_f16_e32 v18, 0x34f2, v39
	v_pack_b32_f16 v30, v16, v24
	v_pack_b32_f16 v31, v9, v20
	;; [unrolled: 1-line block ×3, first 2 shown]
	ds_store_2addr_b32 v38, v0, v12 offset1:18
	ds_store_2addr_b32 v38, v30, v31 offset0:36 offset1:54
	ds_store_b32 v38, v32 offset:288
	s_and_saveexec_b32 s1, s0
	s_cbranch_execz .LBB0_21
; %bb.20:
	v_and_b32_e32 v0, 0xffff, v28
	v_lshlrev_b32_e32 v12, 2, v29
	v_perm_b32 v28, v27, v11, 0x5040100
	v_perm_b32 v29, v25, v14, 0x5040100
	;; [unrolled: 1-line block ×3, first 2 shown]
	v_mul_u32_u24_e32 v0, 0x168, v0
	v_perm_b32 v31, v22, v13, 0x5040100
	s_delay_alu instid0(VALU_DEP_2)
	v_add3_u32 v0, 0, v0, v12
	v_perm_b32 v12, v18, v8, 0x5040100
	ds_store_2addr_b32 v0, v28, v29 offset1:18
	ds_store_2addr_b32 v0, v30, v12 offset0:36 offset1:54
	ds_store_b32 v0, v31 offset:288
.LBB0_21:
	s_wait_alu 0xfffe
	s_or_b32 exec_lo, exec_lo, s1
	v_cmp_gt_u32_e64 s0, 0x5a, v3
	global_wb scope:SCOPE_SE
	s_wait_dscnt 0x0
	s_barrier_signal -1
	s_barrier_wait -1
	global_inv scope:SCOPE_SE
                                        ; implicit-def: $vgpr29
                                        ; implicit-def: $vgpr28
	s_and_saveexec_b32 s1, s0
	s_cbranch_execz .LBB0_23
; %bb.22:
	v_add_nc_u32_e32 v0, 0xa00, v17
	v_add_nc_u32_e32 v8, 0x200, v17
	ds_load_2addr_b32 v[6:7], v17 offset1:90
	ds_load_b32 v28, v17 offset:3600
	ds_load_2addr_b32 v[12:13], v0 offset0:80 offset1:170
	v_add_nc_u32_e32 v9, 0x400, v17
	v_add_nc_u32_e32 v0, 0x800, v17
	ds_load_2addr_b32 v[16:17], v8 offset0:52 offset1:142
	ds_load_2addr_b32 v[10:11], v9 offset0:104 offset1:194
	;; [unrolled: 1-line block ×3, first 2 shown]
	s_wait_dscnt 0x5
	v_lshrrev_b32_e32 v19, 16, v6
	s_wait_dscnt 0x4
	v_lshrrev_b32_e32 v29, 16, v28
	v_lshrrev_b32_e32 v23, 16, v7
	s_wait_dscnt 0x3
	v_mov_b32_e32 v8, v12
	v_lshrrev_b32_e32 v18, 16, v12
	v_lshrrev_b32_e32 v22, 16, v13
	s_wait_dscnt 0x2
	v_lshrrev_b32_e32 v24, 16, v16
	v_lshrrev_b32_e32 v20, 16, v17
	s_wait_dscnt 0x1
	;; [unrolled: 3-line block ×3, first 2 shown]
	v_lshrrev_b32_e32 v25, 16, v14
	v_lshrrev_b32_e32 v26, 16, v15
	v_mov_b32_e32 v9, v17
.LBB0_23:
	s_wait_alu 0xfffe
	s_or_b32 exec_lo, exec_lo, s1
	v_cmp_gt_u32_e64 s1, 0x5a, v3
	s_delay_alu instid0(VALU_DEP_1)
	s_and_b32 s1, vcc_lo, s1
	s_wait_alu 0xfffe
	s_and_saveexec_b32 s4, s1
	s_cbranch_execz .LBB0_25
; %bb.24:
	v_dual_mov_b32 v39, 0 :: v_dual_add_nc_u32 v0, 0xffffffa6, v3
	v_mul_lo_u32 v12, s2, v5
	s_delay_alu instid0(VALU_DEP_2) | instskip(NEXT) | instid1(VALU_DEP_1)
	v_cndmask_b32_e64 v0, v0, v3, s0
	v_mul_i32_i24_e32 v38, 10, v0
	v_mul_lo_u32 v0, s3, v4
	v_mad_co_u64_u32 v[4:5], null, s2, v4, 0
	s_delay_alu instid0(VALU_DEP_3) | instskip(NEXT) | instid1(VALU_DEP_2)
	v_lshlrev_b64_e32 v[30:31], 2, v[38:39]
	v_add3_u32 v5, v5, v12, v0
	s_delay_alu instid0(VALU_DEP_2) | instskip(SKIP_1) | instid1(VALU_DEP_3)
	v_add_co_u32 v35, vcc_lo, s8, v30
	s_wait_alu 0xfffd
	v_add_co_ci_u32_e32 v36, vcc_lo, s9, v31, vcc_lo
	s_delay_alu instid0(VALU_DEP_3)
	v_lshlrev_b64_e32 v[42:43], 2, v[4:5]
	v_lshlrev_b64_e32 v[0:1], 2, v[1:2]
	v_mov_b32_e32 v4, v39
	s_clause 0x2
	global_load_b128 v[31:34], v[35:36], off offset:352
	global_load_b64 v[40:41], v[35:36], off offset:384
	global_load_b128 v[35:38], v[35:36], off offset:368
	v_add_co_u32 v5, vcc_lo, s6, v42
	s_wait_alu 0xfffd
	v_add_co_ci_u32_e32 v12, vcc_lo, s7, v43, vcc_lo
	v_lshlrev_b64_e32 v[2:3], 2, v[3:4]
	s_delay_alu instid0(VALU_DEP_3) | instskip(SKIP_1) | instid1(VALU_DEP_3)
	v_add_co_u32 v0, vcc_lo, v5, v0
	s_wait_alu 0xfffd
	v_add_co_ci_u32_e32 v1, vcc_lo, v12, v1, vcc_lo
	s_delay_alu instid0(VALU_DEP_2) | instskip(SKIP_1) | instid1(VALU_DEP_2)
	v_add_co_u32 v0, vcc_lo, v0, v2
	s_wait_alu 0xfffd
	v_add_co_ci_u32_e32 v1, vcc_lo, v1, v3, vcc_lo
	s_wait_loadcnt 0x2
	v_lshrrev_b32_e32 v3, 16, v31
	s_wait_loadcnt 0x1
	v_lshrrev_b32_e32 v4, 16, v41
	v_lshrrev_b32_e32 v5, 16, v32
	;; [unrolled: 1-line block ×5, first 2 shown]
	s_wait_loadcnt 0x0
	v_lshrrev_b32_e32 v39, 16, v35
	v_lshrrev_b32_e32 v42, 16, v36
	;; [unrolled: 1-line block ×4, first 2 shown]
	v_mul_f16_e32 v45, v23, v3
	v_mul_f16_e32 v46, v28, v4
	;; [unrolled: 1-line block ×20, first 2 shown]
	v_fmac_f16_e32 v45, v7, v31
	v_fma_f16 v3, v29, v41, -v46
	v_fma_f16 v23, v23, v31, -v47
	v_fmac_f16_e32 v2, v28, v41
	v_fmac_f16_e32 v48, v16, v32
	;; [unrolled: 1-line block ×3, first 2 shown]
	v_fma_f16 v7, v22, v40, -v49
	v_fma_f16 v13, v24, v32, -v50
	v_fmac_f16_e32 v51, v9, v33
	v_fmac_f16_e32 v5, v8, v38
	v_fma_f16 v8, v18, v38, -v44
	v_fma_f16 v16, v20, v33, -v52
	v_fmac_f16_e32 v53, v10, v34
	v_fmac_f16_e32 v12, v15, v37
	;; [unrolled: 4-line block ×3, first 2 shown]
	v_fma_f16 v10, v25, v36, -v42
	v_fma_f16 v11, v27, v35, -v39
	v_add_f16_e32 v18, v23, v3
	v_sub_f16_e32 v31, v23, v3
	v_add_f16_e32 v36, v6, v45
	v_add_f16_e32 v23, v19, v23
	v_sub_f16_e32 v14, v45, v2
	v_sub_f16_e32 v20, v48, v4
	v_add_f16_e32 v21, v13, v7
	v_sub_f16_e32 v22, v51, v5
	v_add_f16_e32 v24, v16, v8
	;; [unrolled: 2-line block ×4, first 2 shown]
	v_add_f16_e32 v29, v45, v2
	v_sub_f16_e32 v33, v13, v7
	v_sub_f16_e32 v35, v16, v8
	v_sub_f16_e32 v37, v15, v9
	v_sub_f16_e32 v39, v11, v10
	v_mul_f16_e32 v46, 0xbb47, v31
	v_mul_f16_e32 v56, 0xbbeb, v31
	;; [unrolled: 1-line block ×6, first 2 shown]
	v_add_f16_e32 v36, v36, v48
	v_add_f16_e32 v13, v23, v13
	;; [unrolled: 1-line block ×6, first 2 shown]
	v_mul_f16_e32 v41, 0xbb47, v14
	v_mul_f16_e32 v42, 0xba0c, v20
	;; [unrolled: 1-line block ×44, first 2 shown]
	v_fma_f16 v92, v29, 0x36a6, -v46
	v_fma_f16 v99, v29, 0xb08e, -v56
	;; [unrolled: 1-line block ×4, first 2 shown]
	v_fmac_f16_e32 v70, 0xbbad, v29
	v_fmac_f16_e32 v63, 0xb93d, v29
	;; [unrolled: 1-line block ×4, first 2 shown]
	v_fmamk_f16 v106, v29, 0x3abb, v31
	v_fma_f16 v29, v29, 0x3abb, -v31
	v_add_f16_e32 v36, v36, v51
	v_add_f16_e32 v13, v13, v16
	v_fmamk_f16 v16, v14, 0x3853, v72
	v_fmamk_f16 v87, v18, 0x36a6, v41
	;; [unrolled: 1-line block ×6, first 2 shown]
	v_fma_f16 v93, v32, 0xb93d, -v47
	v_fmamk_f16 v94, v18, 0xb08e, v49
	v_fmamk_f16 v95, v21, 0xbbad, v50
	;; [unrolled: 1-line block ×5, first 2 shown]
	v_fma_f16 v100, v32, 0xbbad, -v57
	v_fmamk_f16 v101, v18, 0xb93d, v58
	v_fmamk_f16 v102, v21, 0xb08e, v59
	;; [unrolled: 1-line block ×6, first 2 shown]
	v_fma_f16 v65, v18, 0xbbad, -v65
	v_fma_f16 v58, v18, 0xb93d, -v58
	v_fma_f16 v49, v18, 0xb08e, -v49
	v_fma_f16 v18, v18, 0x36a6, -v41
	v_fmamk_f16 v41, v21, 0x3abb, v66
	v_fma_f16 v66, v21, 0x3abb, -v66
	v_fma_f16 v59, v21, 0xb08e, -v59
	v_fma_f16 v50, v21, 0xbbad, -v50
	v_fma_f16 v21, v21, 0xb93d, -v42
	v_fmamk_f16 v42, v24, 0xb93d, v67
	;; [unrolled: 5-line block ×4, first 2 shown]
	v_fma_f16 v69, v28, 0xb08e, -v69
	v_fma_f16 v62, v28, 0x36a6, -v62
	;; [unrolled: 1-line block ×6, first 2 shown]
	v_fmac_f16_e32 v71, 0x3abb, v32
	v_fmac_f16_e32 v64, 0xb08e, v32
	;; [unrolled: 1-line block ×5, first 2 shown]
	v_fmamk_f16 v14, v20, 0x3b47, v73
	v_fmac_f16_e32 v73, 0xbb47, v20
	v_fmamk_f16 v20, v22, 0x3beb, v74
	v_fmac_f16_e32 v74, 0xbbeb, v22
	;; [unrolled: 2-line block ×4, first 2 shown]
	v_fmamk_f16 v27, v32, 0x36a6, v33
	v_fma_f16 v32, v32, 0x36a6, -v33
	v_fma_f16 v33, v34, 0xb93d, -v23
	v_fmac_f16_e32 v23, 0xb93d, v34
	v_fma_f16 v109, v34, 0x3abb, -v77
	v_fmac_f16_e32 v77, 0x3abb, v34
	v_fma_f16 v110, v34, 0x36a6, -v78
	v_fmac_f16_e32 v78, 0x36a6, v34
	v_fma_f16 v111, v34, 0xbbad, -v48
	v_fmac_f16_e32 v48, 0xbbad, v34
	v_fmamk_f16 v112, v34, 0xb08e, v35
	v_fma_f16 v34, v34, 0xb08e, -v35
	v_fma_f16 v35, v38, 0x36a6, -v82
	v_fmac_f16_e32 v82, 0x36a6, v38
	v_fma_f16 v113, v38, 0xbbad, -v81
	v_fmac_f16_e32 v81, 0xbbad, v38
	v_fma_f16 v114, v38, 0x3abb, -v80
	v_fmac_f16_e32 v80, 0x3abb, v38
	v_fma_f16 v115, v38, 0xb08e, -v79
	v_fmac_f16_e32 v79, 0xb08e, v38
	;; [unrolled: 10-line block ×3, first 2 shown]
	v_fmamk_f16 v120, v40, 0xbbad, v39
	v_fma_f16 v39, v40, 0xbbad, -v39
	v_add_f16_e32 v40, v6, v92
	v_add_f16_e32 v92, v6, v99
	;; [unrolled: 1-line block ×112, first 2 shown]
	v_pack_b32_f16 v8, v21, v18
	v_add_f16_e32 v2, v2, v4
	v_add_f16_e32 v3, v3, v5
	v_pack_b32_f16 v7, v12, v9
	v_pack_b32_f16 v9, v31, v30
	;; [unrolled: 1-line block ×10, first 2 shown]
	s_clause 0xa
	global_store_b32 v[0:1], v8, off offset:720
	global_store_b32 v[0:1], v9, off offset:1080
	;; [unrolled: 1-line block ×7, first 2 shown]
	global_store_b32 v[0:1], v2, off
	global_store_b32 v[0:1], v5, off offset:2880
	global_store_b32 v[0:1], v11, off offset:3240
	;; [unrolled: 1-line block ×3, first 2 shown]
.LBB0_25:
	s_nop 0
	s_sendmsg sendmsg(MSG_DEALLOC_VGPRS)
	s_endpgm
	.section	.rodata,"a",@progbits
	.p2align	6, 0x0
	.amdhsa_kernel fft_rtc_back_len990_factors_2_3_3_5_11_wgs_110_tpt_110_half_op_CI_CI_unitstride_sbrr_dirReg
		.amdhsa_group_segment_fixed_size 0
		.amdhsa_private_segment_fixed_size 0
		.amdhsa_kernarg_size 104
		.amdhsa_user_sgpr_count 2
		.amdhsa_user_sgpr_dispatch_ptr 0
		.amdhsa_user_sgpr_queue_ptr 0
		.amdhsa_user_sgpr_kernarg_segment_ptr 1
		.amdhsa_user_sgpr_dispatch_id 0
		.amdhsa_user_sgpr_private_segment_size 0
		.amdhsa_wavefront_size32 1
		.amdhsa_uses_dynamic_stack 0
		.amdhsa_enable_private_segment 0
		.amdhsa_system_sgpr_workgroup_id_x 1
		.amdhsa_system_sgpr_workgroup_id_y 0
		.amdhsa_system_sgpr_workgroup_id_z 0
		.amdhsa_system_sgpr_workgroup_info 0
		.amdhsa_system_vgpr_workitem_id 0
		.amdhsa_next_free_vgpr 121
		.amdhsa_next_free_sgpr 39
		.amdhsa_reserve_vcc 1
		.amdhsa_float_round_mode_32 0
		.amdhsa_float_round_mode_16_64 0
		.amdhsa_float_denorm_mode_32 3
		.amdhsa_float_denorm_mode_16_64 3
		.amdhsa_fp16_overflow 0
		.amdhsa_workgroup_processor_mode 1
		.amdhsa_memory_ordered 1
		.amdhsa_forward_progress 0
		.amdhsa_round_robin_scheduling 0
		.amdhsa_exception_fp_ieee_invalid_op 0
		.amdhsa_exception_fp_denorm_src 0
		.amdhsa_exception_fp_ieee_div_zero 0
		.amdhsa_exception_fp_ieee_overflow 0
		.amdhsa_exception_fp_ieee_underflow 0
		.amdhsa_exception_fp_ieee_inexact 0
		.amdhsa_exception_int_div_zero 0
	.end_amdhsa_kernel
	.text
.Lfunc_end0:
	.size	fft_rtc_back_len990_factors_2_3_3_5_11_wgs_110_tpt_110_half_op_CI_CI_unitstride_sbrr_dirReg, .Lfunc_end0-fft_rtc_back_len990_factors_2_3_3_5_11_wgs_110_tpt_110_half_op_CI_CI_unitstride_sbrr_dirReg
                                        ; -- End function
	.section	.AMDGPU.csdata,"",@progbits
; Kernel info:
; codeLenInByte = 7864
; NumSgprs: 41
; NumVgprs: 121
; ScratchSize: 0
; MemoryBound: 0
; FloatMode: 240
; IeeeMode: 1
; LDSByteSize: 0 bytes/workgroup (compile time only)
; SGPRBlocks: 5
; VGPRBlocks: 15
; NumSGPRsForWavesPerEU: 41
; NumVGPRsForWavesPerEU: 121
; Occupancy: 10
; WaveLimiterHint : 1
; COMPUTE_PGM_RSRC2:SCRATCH_EN: 0
; COMPUTE_PGM_RSRC2:USER_SGPR: 2
; COMPUTE_PGM_RSRC2:TRAP_HANDLER: 0
; COMPUTE_PGM_RSRC2:TGID_X_EN: 1
; COMPUTE_PGM_RSRC2:TGID_Y_EN: 0
; COMPUTE_PGM_RSRC2:TGID_Z_EN: 0
; COMPUTE_PGM_RSRC2:TIDIG_COMP_CNT: 0
	.text
	.p2alignl 7, 3214868480
	.fill 96, 4, 3214868480
	.type	__hip_cuid_68923015a26db8ee,@object ; @__hip_cuid_68923015a26db8ee
	.section	.bss,"aw",@nobits
	.globl	__hip_cuid_68923015a26db8ee
__hip_cuid_68923015a26db8ee:
	.byte	0                               ; 0x0
	.size	__hip_cuid_68923015a26db8ee, 1

	.ident	"AMD clang version 19.0.0git (https://github.com/RadeonOpenCompute/llvm-project roc-6.4.0 25133 c7fe45cf4b819c5991fe208aaa96edf142730f1d)"
	.section	".note.GNU-stack","",@progbits
	.addrsig
	.addrsig_sym __hip_cuid_68923015a26db8ee
	.amdgpu_metadata
---
amdhsa.kernels:
  - .args:
      - .actual_access:  read_only
        .address_space:  global
        .offset:         0
        .size:           8
        .value_kind:     global_buffer
      - .offset:         8
        .size:           8
        .value_kind:     by_value
      - .actual_access:  read_only
        .address_space:  global
        .offset:         16
        .size:           8
        .value_kind:     global_buffer
      - .actual_access:  read_only
        .address_space:  global
        .offset:         24
        .size:           8
        .value_kind:     global_buffer
      - .actual_access:  read_only
        .address_space:  global
        .offset:         32
        .size:           8
        .value_kind:     global_buffer
      - .offset:         40
        .size:           8
        .value_kind:     by_value
      - .actual_access:  read_only
        .address_space:  global
        .offset:         48
        .size:           8
        .value_kind:     global_buffer
      - .actual_access:  read_only
        .address_space:  global
        .offset:         56
        .size:           8
        .value_kind:     global_buffer
      - .offset:         64
        .size:           4
        .value_kind:     by_value
      - .actual_access:  read_only
        .address_space:  global
        .offset:         72
        .size:           8
        .value_kind:     global_buffer
      - .actual_access:  read_only
        .address_space:  global
        .offset:         80
        .size:           8
        .value_kind:     global_buffer
      - .actual_access:  read_only
        .address_space:  global
        .offset:         88
        .size:           8
        .value_kind:     global_buffer
      - .actual_access:  write_only
        .address_space:  global
        .offset:         96
        .size:           8
        .value_kind:     global_buffer
    .group_segment_fixed_size: 0
    .kernarg_segment_align: 8
    .kernarg_segment_size: 104
    .language:       OpenCL C
    .language_version:
      - 2
      - 0
    .max_flat_workgroup_size: 110
    .name:           fft_rtc_back_len990_factors_2_3_3_5_11_wgs_110_tpt_110_half_op_CI_CI_unitstride_sbrr_dirReg
    .private_segment_fixed_size: 0
    .sgpr_count:     41
    .sgpr_spill_count: 0
    .symbol:         fft_rtc_back_len990_factors_2_3_3_5_11_wgs_110_tpt_110_half_op_CI_CI_unitstride_sbrr_dirReg.kd
    .uniform_work_group_size: 1
    .uses_dynamic_stack: false
    .vgpr_count:     121
    .vgpr_spill_count: 0
    .wavefront_size: 32
    .workgroup_processor_mode: 1
amdhsa.target:   amdgcn-amd-amdhsa--gfx1201
amdhsa.version:
  - 1
  - 2
...

	.end_amdgpu_metadata
